;; amdgpu-corpus repo=ROCm/bitsandbytes kind=harvested arch=n/a opt=n/a
	.text
	.amdgcn_target "amdgcn-amd-amdhsa--gfx1100"
	.amdhsa_code_object_version 6
	.protected	_Z20kDequantizeBlockwiseI12hip_bfloat16Li512ELi64ELi8ELi2EEvPfPhS1_PT_ii ; -- Begin function _Z20kDequantizeBlockwiseI12hip_bfloat16Li512ELi64ELi8ELi2EEvPfPhS1_PT_ii
	.globl	_Z20kDequantizeBlockwiseI12hip_bfloat16Li512ELi64ELi8ELi2EEvPfPhS1_PT_ii
	.p2align	8
	.type	_Z20kDequantizeBlockwiseI12hip_bfloat16Li512ELi64ELi8ELi2EEvPfPhS1_PT_ii,@function
_Z20kDequantizeBlockwiseI12hip_bfloat16Li512ELi64ELi8ELi2EEvPfPhS1_PT_ii: ; @_Z20kDequantizeBlockwiseI12hip_bfloat16Li512ELi64ELi8ELi2EEvPfPhS1_PT_ii
; %bb.0:
	s_load_b32 s10, s[0:1], 0x28
	s_lshl_b32 s9, s15, 9
	s_waitcnt lgkmcnt(0)
	s_lshl_b32 s8, s10, 9
	s_delay_alu instid0(SALU_CYCLE_1)
	s_cmp_ge_i32 s9, s8
	s_cbranch_scc1 .LBB161_115
; %bb.1:
	s_load_b256 s[0:7], s[0:1], 0x8
	v_lshlrev_b32_e32 v6, 3, v0
	v_mbcnt_lo_u32_b32 v1, -1, 0
	s_delay_alu instid0(VALU_DEP_2) | instskip(NEXT) | instid1(VALU_DEP_1)
	v_and_b32_e32 v2, 0x1f00, v6
	v_or_b32_e32 v7, v1, v2
	v_lshrrev_b32_e32 v3, 5, v2
	s_delay_alu instid0(VALU_DEP_2)
	v_or_b32_e32 v11, 0x80, v7
	v_or_b32_e32 v12, 0xa0, v7
	;; [unrolled: 1-line block ×4, first 2 shown]
	s_waitcnt lgkmcnt(0)
	v_add_co_u32 v4, s0, s0, v1
	s_delay_alu instid0(VALU_DEP_1) | instskip(SKIP_1) | instid1(VALU_DEP_3)
	v_add_co_ci_u32_e64 v5, null, s1, 0, s0
	v_or_b32_e32 v9, 64, v7
	v_add_co_u32 v14, vcc_lo, v4, v2
	v_lshrrev_b32_e32 v2, 5, v11
	v_or_b32_e32 v10, 0x60, v7
	v_add_co_ci_u32_e32 v15, vcc_lo, 0, v5, vcc_lo
	v_or_b32_e32 v16, 0xe0, v7
	v_lshrrev_b32_e32 v4, 5, v12
	v_add_nc_u32_e32 v21, v2, v11
	v_lshrrev_b32_e32 v2, 5, v13
	v_and_or_b32 v5, 0x3e0, v0, v1
	v_lshlrev_b32_e32 v0, 4, v0
	v_add_nc_u32_e32 v17, v3, v7
	v_add_nc_u32_e32 v18, v3, v8
	;; [unrolled: 1-line block ×4, first 2 shown]
	v_and_b32_e32 v3, 0xfc, v4
	v_lshrrev_b32_e32 v4, 5, v16
	v_and_b32_e32 v2, 0xfc, v2
	v_and_b32_e32 v0, 0x3e00, v0
	s_add_i32 s11, s7, 1
	v_add_nc_u32_e32 v22, v3, v12
	v_and_b32_e32 v3, 0xfc, v4
	v_lshrrev_b32_e32 v4, 2, v5
	v_add_nc_u32_e32 v23, v2, v13
	v_lshrrev_b16 v2, 1, v5
	v_or_b32_e32 v25, v1, v0
	v_add_nc_u32_e32 v24, v3, v16
	v_and_b32_e32 v3, 0xfc, v4
	v_lshlrev_b32_e32 v4, 4, v5
	v_and_b32_e32 v2, 0x1fe, v2
	v_or_b32_e32 v27, 64, v25
	v_or_b32_e32 v28, 0x60, v25
	v_lshl_add_u32 v26, v5, 3, v3
	v_or_b32_e32 v32, 0xa0, v25
	v_add_lshl_u32 v29, v2, v4, 1
	v_lshrrev_b32_e32 v2, 5, v27
	v_lshrrev_b32_e32 v3, 5, v28
	v_or_b32_e32 v33, 0x80, v25
	v_or_b32_e32 v36, 0xe0, v25
	;; [unrolled: 1-line block ×3, first 2 shown]
	v_add_lshl_u32 v35, v2, v27, 1
	v_and_b32_e32 v2, 0x1f2, v3
	v_lshrrev_b32_e32 v3, 5, v32
	v_lshrrev_b32_e32 v4, 5, v33
	v_or_b32_e32 v40, 0x120, v25
	v_or_b32_e32 v42, 0x100, v25
	v_add_lshl_u32 v38, v2, v28, 1
	v_and_b32_e32 v2, 0x1f4, v3
	v_add_lshl_u32 v39, v4, v33, 1
	v_lshrrev_b32_e32 v3, 5, v36
	v_lshrrev_b32_e32 v4, 5, v37
	v_or_b32_e32 v44, 0x140, v25
	v_add_lshl_u32 v41, v2, v32, 1
	v_or_b32_e32 v46, 0x160, v25
	v_and_b32_e32 v2, 0x1f6, v3
	v_add_lshl_u32 v43, v4, v37, 1
	v_lshrrev_b32_e32 v3, 5, v40
	v_lshrrev_b32_e32 v4, 5, v42
	v_or_b32_e32 v48, 0x1a0, v25
	v_add_lshl_u32 v45, v2, v36, 1
	v_or_b32_e32 v52, 0x1c0, v25
	v_and_b32_e32 v2, 0x1f8, v3
	v_lshrrev_b32_e32 v3, 5, v44
	v_add_lshl_u32 v47, v4, v42, 1
	v_lshrrev_b32_e32 v4, 5, v46
	v_or_b32_e32 v53, 0x1e0, v25
	v_add_lshl_u32 v49, v2, v40, 1
	v_add_lshl_u32 v50, v3, v44, 1
	v_lshrrev_b32_e32 v2, 5, v48
	v_and_b32_e32 v3, 0x1fa, v4
	v_lshlrev_b32_e32 v1, 1, v1
	v_or_b32_e32 v51, 0x180, v25
	v_lshrrev_b32_e32 v5, 5, v53
	v_and_b32_e32 v2, 0x1fc, v2
	v_add_lshl_u32 v54, v3, v46, 1
	v_lshrrev_b32_e32 v3, 5, v52
	s_lshr_b32 s0, s11, 31
	v_lshrrev_b32_e32 v34, 5, v0
	s_add_i32 s11, s11, s0
	v_lshlrev_b32_e32 v0, 1, v0
	v_add_co_u32 v1, s0, s4, v1
	v_or_b32_e32 v31, 32, v25
	v_lshrrev_b32_e32 v4, 5, v51
	v_add_lshl_u32 v56, v2, v48, 1
	v_add_lshl_u32 v57, v3, v52, 1
	v_and_b32_e32 v2, 0x1fe, v5
	v_add_co_ci_u32_e64 v3, null, s5, 0, s0
	s_clz_i32_u32 s6, s6
	v_add_co_u32 v59, vcc_lo, v1, v0
	v_mov_b32_e32 v1, 0
	s_min_u32 s1, s6, 32
	v_add_lshl_u32 v30, v34, v25, 1
	v_add_lshl_u32 v34, v34, v31, 1
	;; [unrolled: 1-line block ×4, first 2 shown]
	v_add_co_ci_u32_e32 v60, vcc_lo, 0, v3, vcc_lo
	s_sub_i32 s6, 31, s1
	s_ashr_i32 s1, s11, 1
	s_lshl_b32 s0, s15, 10
	s_sub_i32 s4, s1, s9
	s_sub_i32 s5, s7, s0
	s_lshl_b32 s7, s10, 10
	s_branch .LBB161_3
.LBB161_2:                              ;   in Loop: Header=BB161_3 Depth=1
	s_or_b32 exec_lo, exec_lo, s1
	s_add_i32 s9, s9, s8
	s_sub_i32 s4, s4, s8
	s_sub_i32 s5, s5, s7
	s_add_i32 s0, s0, s7
	s_cmp_ge_i32 s9, s8
	s_cbranch_scc1 .LBB161_115
.LBB161_3:                              ; =>This Inner Loop Header: Depth=1
	s_waitcnt lgkmcnt(0)
	v_dual_mov_b32 v5, 0x80 :: v_dual_add_nc_u32 v0, s9, v6
	s_ashr_i32 s10, s9, 31
	v_dual_mov_b32 v4, 0x80 :: v_dual_mov_b32 v61, 0x80
	s_delay_alu instid0(VALU_DEP_2) | instskip(SKIP_2) | instid1(VALU_DEP_3)
	v_lshrrev_b32_e32 v0, s6, v0
	v_dual_mov_b32 v62, 0x80 :: v_dual_mov_b32 v63, 0x80
	v_dual_mov_b32 v64, 0x80 :: v_dual_mov_b32 v65, 0x80
	v_lshlrev_b64 v[2:3], 2, v[0:1]
	s_min_i32 s1, s4, 0x200
	s_delay_alu instid0(VALU_DEP_1) | instskip(NEXT) | instid1(VALU_DEP_2)
	v_add_co_u32 v2, vcc_lo, s2, v2
	v_add_co_ci_u32_e32 v3, vcc_lo, s3, v3, vcc_lo
	global_load_b32 v0, v[2:3], off
	v_add_co_u32 v2, vcc_lo, v14, s9
	v_add_co_ci_u32_e32 v3, vcc_lo, s10, v15, vcc_lo
	s_mov_b32 s10, exec_lo
	s_waitcnt vmcnt(0)
	s_waitcnt_vscnt null, 0x0
	s_barrier
	buffer_gl0_inv
	v_cmpx_gt_u32_e64 s1, v7
	s_cbranch_execz .LBB161_5
; %bb.4:                                ;   in Loop: Header=BB161_3 Depth=1
	global_load_u8 v5, v[2:3], off
	v_dual_mov_b32 v4, 0x80 :: v_dual_mov_b32 v61, 0x80
	v_dual_mov_b32 v62, 0x80 :: v_dual_mov_b32 v63, 0x80
	;; [unrolled: 1-line block ×3, first 2 shown]
.LBB161_5:                              ;   in Loop: Header=BB161_3 Depth=1
	s_or_b32 exec_lo, exec_lo, s10
	s_delay_alu instid0(VALU_DEP_3)
	v_mov_b32_e32 v66, v4
	s_mov_b32 s10, exec_lo
	v_cmpx_gt_u32_e64 s1, v8
	s_cbranch_execnz .LBB161_93
; %bb.6:                                ;   in Loop: Header=BB161_3 Depth=1
	s_or_b32 exec_lo, exec_lo, s10
	s_delay_alu instid0(SALU_CYCLE_1)
	s_mov_b32 s10, exec_lo
	v_cmpx_gt_u32_e64 s1, v9
	s_cbranch_execnz .LBB161_94
.LBB161_7:                              ;   in Loop: Header=BB161_3 Depth=1
	s_or_b32 exec_lo, exec_lo, s10
	s_delay_alu instid0(SALU_CYCLE_1)
	s_mov_b32 s10, exec_lo
	v_cmpx_gt_u32_e64 s1, v10
	s_cbranch_execnz .LBB161_95
.LBB161_8:                              ;   in Loop: Header=BB161_3 Depth=1
	s_or_b32 exec_lo, exec_lo, s10
	s_delay_alu instid0(SALU_CYCLE_1)
	s_mov_b32 s10, exec_lo
	v_cmpx_gt_u32_e64 s1, v11
	s_cbranch_execnz .LBB161_96
.LBB161_9:                              ;   in Loop: Header=BB161_3 Depth=1
	s_or_b32 exec_lo, exec_lo, s10
	s_delay_alu instid0(SALU_CYCLE_1)
	s_mov_b32 s10, exec_lo
	v_cmpx_gt_u32_e64 s1, v12
	s_cbranch_execnz .LBB161_97
.LBB161_10:                             ;   in Loop: Header=BB161_3 Depth=1
	s_or_b32 exec_lo, exec_lo, s10
	s_delay_alu instid0(SALU_CYCLE_1)
	s_mov_b32 s10, exec_lo
	v_cmpx_gt_u32_e64 s1, v13
	s_cbranch_execnz .LBB161_98
.LBB161_11:                             ;   in Loop: Header=BB161_3 Depth=1
	s_or_b32 exec_lo, exec_lo, s10
	v_cmp_gt_u32_e32 vcc_lo, s1, v16
	s_and_saveexec_b32 s1, vcc_lo
	s_cbranch_execz .LBB161_13
.LBB161_12:                             ;   in Loop: Header=BB161_3 Depth=1
	global_load_u8 v65, v[2:3], off offset:224
.LBB161_13:                             ;   in Loop: Header=BB161_3 Depth=1
	s_or_b32 exec_lo, exec_lo, s1
	s_waitcnt vmcnt(0)
	ds_store_b8 v17, v5 offset:2112
	ds_store_b8 v18, v66 offset:2112
	;; [unrolled: 1-line block ×8, first 2 shown]
	; wave barrier
	ds_load_b64 v[2:3], v26 offset:2112
	s_getpc_b64 s[10:11]
	s_add_u32 s10, s10, _ZL22nf4_dequantization_lut@rel32@lo+4
	s_addc_u32 s11, s11, _ZL22nf4_dequantization_lut@rel32@hi+12
	s_mov_b32 s1, exec_lo
                                        ; implicit-def: $vgpr61
	s_waitcnt lgkmcnt(0)
	v_lshrrev_b16 v4, 4, v2
	s_delay_alu instid0(VALU_DEP_1) | instskip(NEXT) | instid1(VALU_DEP_1)
	v_and_b32_e32 v4, 15, v4
	v_and_b32_e32 v4, 0xffff, v4
	s_delay_alu instid0(VALU_DEP_1) | instskip(SKIP_3) | instid1(VALU_DEP_1)
	v_lshlrev_b32_e32 v4, 2, v4
	global_load_b32 v4, v4, s[10:11]
	s_waitcnt vmcnt(0)
	v_mul_f32_e32 v4, v0, v4
	v_and_b32_e32 v5, 0x7f800000, v4
	s_delay_alu instid0(VALU_DEP_1)
	v_cmpx_ne_u32_e32 0x7f800000, v5
	s_xor_b32 s1, exec_lo, s1
; %bb.14:                               ;   in Loop: Header=BB161_3 Depth=1
	v_bfe_u32 v5, v4, 16, 1
	s_delay_alu instid0(VALU_DEP_1)
	v_add3_u32 v61, v4, v5, 0x7fff
                                        ; implicit-def: $vgpr4
; %bb.15:                               ;   in Loop: Header=BB161_3 Depth=1
	s_and_not1_saveexec_b32 s1, s1
; %bb.16:                               ;   in Loop: Header=BB161_3 Depth=1
	v_and_b32_e32 v5, 0xffff, v4
	v_or_b32_e32 v61, 0x10000, v4
	s_delay_alu instid0(VALU_DEP_2) | instskip(NEXT) | instid1(VALU_DEP_2)
	v_cmp_eq_u32_e32 vcc_lo, 0, v5
	v_cndmask_b32_e32 v61, v61, v4, vcc_lo
; %bb.17:                               ;   in Loop: Header=BB161_3 Depth=1
	s_or_b32 exec_lo, exec_lo, s1
	v_and_b32_e32 v4, 15, v2
	s_getpc_b64 s[10:11]
	s_add_u32 s10, s10, _ZL22nf4_dequantization_lut@rel32@lo+4
	s_addc_u32 s11, s11, _ZL22nf4_dequantization_lut@rel32@hi+12
	s_mov_b32 s1, exec_lo
                                        ; implicit-def: $vgpr62
	v_lshlrev_b32_e32 v4, 2, v4
	global_load_b32 v4, v4, s[10:11]
	s_waitcnt vmcnt(0)
	v_mul_f32_e32 v4, v0, v4
	s_delay_alu instid0(VALU_DEP_1) | instskip(NEXT) | instid1(VALU_DEP_1)
	v_and_b32_e32 v5, 0x7f800000, v4
	v_cmpx_ne_u32_e32 0x7f800000, v5
	s_xor_b32 s1, exec_lo, s1
; %bb.18:                               ;   in Loop: Header=BB161_3 Depth=1
	v_bfe_u32 v5, v4, 16, 1
	s_delay_alu instid0(VALU_DEP_1)
	v_add3_u32 v62, v4, v5, 0x7fff
                                        ; implicit-def: $vgpr4
; %bb.19:                               ;   in Loop: Header=BB161_3 Depth=1
	s_and_not1_saveexec_b32 s1, s1
; %bb.20:                               ;   in Loop: Header=BB161_3 Depth=1
	v_and_b32_e32 v5, 0xffff, v4
	v_or_b32_e32 v62, 0x10000, v4
	s_delay_alu instid0(VALU_DEP_2) | instskip(NEXT) | instid1(VALU_DEP_2)
	v_cmp_eq_u32_e32 vcc_lo, 0, v5
	v_cndmask_b32_e32 v62, v62, v4, vcc_lo
; %bb.21:                               ;   in Loop: Header=BB161_3 Depth=1
	s_or_b32 exec_lo, exec_lo, s1
	v_lshrrev_b32_e32 v4, 8, v2
	s_getpc_b64 s[10:11]
	s_add_u32 s10, s10, _ZL22nf4_dequantization_lut@rel32@lo+4
	s_addc_u32 s11, s11, _ZL22nf4_dequantization_lut@rel32@hi+12
	s_delay_alu instid0(VALU_DEP_1) | instskip(NEXT) | instid1(VALU_DEP_1)
	v_lshrrev_b16 v5, 4, v4
	v_and_b32_e32 v5, 15, v5
	s_delay_alu instid0(VALU_DEP_1) | instskip(NEXT) | instid1(VALU_DEP_1)
	v_and_b32_e32 v5, 0xffff, v5
	v_lshlrev_b32_e32 v5, 2, v5
	global_load_b32 v5, v5, s[10:11]
	s_waitcnt vmcnt(0)
	v_mul_f32_e32 v5, v0, v5
	s_delay_alu instid0(VALU_DEP_1) | instskip(NEXT) | instid1(VALU_DEP_1)
	v_and_b32_e32 v63, 0x7f800000, v5
	v_cmp_ne_u32_e32 vcc_lo, 0x7f800000, v63
                                        ; implicit-def: $vgpr63
	s_and_saveexec_b32 s1, vcc_lo
	s_delay_alu instid0(SALU_CYCLE_1)
	s_xor_b32 s1, exec_lo, s1
; %bb.22:                               ;   in Loop: Header=BB161_3 Depth=1
	v_bfe_u32 v63, v5, 16, 1
	s_delay_alu instid0(VALU_DEP_1)
	v_add3_u32 v63, v5, v63, 0x7fff
                                        ; implicit-def: $vgpr5
; %bb.23:                               ;   in Loop: Header=BB161_3 Depth=1
	s_and_not1_saveexec_b32 s1, s1
; %bb.24:                               ;   in Loop: Header=BB161_3 Depth=1
	v_and_b32_e32 v63, 0xffff, v5
	v_or_b32_e32 v64, 0x10000, v5
	s_delay_alu instid0(VALU_DEP_2) | instskip(NEXT) | instid1(VALU_DEP_2)
	v_cmp_eq_u32_e32 vcc_lo, 0, v63
	v_cndmask_b32_e32 v63, v64, v5, vcc_lo
; %bb.25:                               ;   in Loop: Header=BB161_3 Depth=1
	s_or_b32 exec_lo, exec_lo, s1
	v_and_b32_e32 v4, 15, v4
	s_getpc_b64 s[10:11]
	s_add_u32 s10, s10, _ZL22nf4_dequantization_lut@rel32@lo+4
	s_addc_u32 s11, s11, _ZL22nf4_dequantization_lut@rel32@hi+12
	s_mov_b32 s1, exec_lo
                                        ; implicit-def: $vgpr64
	v_lshlrev_b32_e32 v4, 2, v4
	global_load_b32 v4, v4, s[10:11]
	s_waitcnt vmcnt(0)
	v_mul_f32_e32 v4, v0, v4
	s_delay_alu instid0(VALU_DEP_1) | instskip(NEXT) | instid1(VALU_DEP_1)
	v_and_b32_e32 v5, 0x7f800000, v4
	v_cmpx_ne_u32_e32 0x7f800000, v5
	s_xor_b32 s1, exec_lo, s1
; %bb.26:                               ;   in Loop: Header=BB161_3 Depth=1
	v_bfe_u32 v5, v4, 16, 1
	s_delay_alu instid0(VALU_DEP_1)
	v_add3_u32 v64, v4, v5, 0x7fff
                                        ; implicit-def: $vgpr4
; %bb.27:                               ;   in Loop: Header=BB161_3 Depth=1
	s_and_not1_saveexec_b32 s1, s1
; %bb.28:                               ;   in Loop: Header=BB161_3 Depth=1
	v_and_b32_e32 v5, 0xffff, v4
	v_or_b32_e32 v64, 0x10000, v4
	s_delay_alu instid0(VALU_DEP_2) | instskip(NEXT) | instid1(VALU_DEP_2)
	v_cmp_eq_u32_e32 vcc_lo, 0, v5
	v_cndmask_b32_e32 v64, v64, v4, vcc_lo
; %bb.29:                               ;   in Loop: Header=BB161_3 Depth=1
	s_or_b32 exec_lo, exec_lo, s1
	v_lshrrev_b32_e32 v4, 18, v2
	s_getpc_b64 s[10:11]
	s_add_u32 s10, s10, _ZL22nf4_dequantization_lut@rel32@lo+4
	s_addc_u32 s11, s11, _ZL22nf4_dequantization_lut@rel32@hi+12
	s_mov_b32 s1, exec_lo
                                        ; implicit-def: $vgpr65
	v_and_b32_e32 v4, 60, v4
	global_load_b32 v4, v4, s[10:11]
	s_waitcnt vmcnt(0)
	v_mul_f32_e32 v4, v0, v4
	s_delay_alu instid0(VALU_DEP_1) | instskip(NEXT) | instid1(VALU_DEP_1)
	v_and_b32_e32 v5, 0x7f800000, v4
	v_cmpx_ne_u32_e32 0x7f800000, v5
	s_xor_b32 s1, exec_lo, s1
; %bb.30:                               ;   in Loop: Header=BB161_3 Depth=1
	v_bfe_u32 v5, v4, 16, 1
	s_delay_alu instid0(VALU_DEP_1)
	v_add3_u32 v65, v4, v5, 0x7fff
                                        ; implicit-def: $vgpr4
; %bb.31:                               ;   in Loop: Header=BB161_3 Depth=1
	s_and_not1_saveexec_b32 s1, s1
; %bb.32:                               ;   in Loop: Header=BB161_3 Depth=1
	v_and_b32_e32 v5, 0xffff, v4
	v_or_b32_e32 v65, 0x10000, v4
	s_delay_alu instid0(VALU_DEP_2) | instskip(NEXT) | instid1(VALU_DEP_2)
	v_cmp_eq_u32_e32 vcc_lo, 0, v5
	v_cndmask_b32_e32 v65, v65, v4, vcc_lo
; %bb.33:                               ;   in Loop: Header=BB161_3 Depth=1
	s_or_b32 exec_lo, exec_lo, s1
	v_lshrrev_b32_e32 v4, 16, v2
	s_getpc_b64 s[10:11]
	s_add_u32 s10, s10, _ZL22nf4_dequantization_lut@rel32@lo+4
	s_addc_u32 s11, s11, _ZL22nf4_dequantization_lut@rel32@hi+12
	s_mov_b32 s1, exec_lo
                                        ; implicit-def: $vgpr66
	v_and_b32_e32 v4, 15, v4
	s_delay_alu instid0(VALU_DEP_1) | instskip(SKIP_3) | instid1(VALU_DEP_1)
	v_lshlrev_b32_e32 v4, 2, v4
	global_load_b32 v4, v4, s[10:11]
	s_waitcnt vmcnt(0)
	v_mul_f32_e32 v4, v0, v4
	v_and_b32_e32 v5, 0x7f800000, v4
	s_delay_alu instid0(VALU_DEP_1)
	v_cmpx_ne_u32_e32 0x7f800000, v5
	s_xor_b32 s1, exec_lo, s1
; %bb.34:                               ;   in Loop: Header=BB161_3 Depth=1
	v_bfe_u32 v5, v4, 16, 1
	s_delay_alu instid0(VALU_DEP_1)
	v_add3_u32 v66, v4, v5, 0x7fff
                                        ; implicit-def: $vgpr4
; %bb.35:                               ;   in Loop: Header=BB161_3 Depth=1
	s_and_not1_saveexec_b32 s1, s1
; %bb.36:                               ;   in Loop: Header=BB161_3 Depth=1
	v_and_b32_e32 v5, 0xffff, v4
	v_or_b32_e32 v66, 0x10000, v4
	s_delay_alu instid0(VALU_DEP_2) | instskip(NEXT) | instid1(VALU_DEP_2)
	v_cmp_eq_u32_e32 vcc_lo, 0, v5
	v_cndmask_b32_e32 v66, v66, v4, vcc_lo
; %bb.37:                               ;   in Loop: Header=BB161_3 Depth=1
	s_or_b32 exec_lo, exec_lo, s1
	v_lshrrev_b64 v[4:5], 24, v[2:3]
	s_getpc_b64 s[10:11]
	s_add_u32 s10, s10, _ZL22nf4_dequantization_lut@rel32@lo+4
	s_addc_u32 s11, s11, _ZL22nf4_dequantization_lut@rel32@hi+12
	s_delay_alu instid0(VALU_DEP_1) | instskip(NEXT) | instid1(VALU_DEP_1)
	v_lshrrev_b16 v2, 4, v4
	v_and_b32_e32 v2, 15, v2
	s_delay_alu instid0(VALU_DEP_1) | instskip(NEXT) | instid1(VALU_DEP_1)
	v_and_b32_e32 v2, 0xffff, v2
	v_lshlrev_b32_e32 v2, 2, v2
	global_load_b32 v2, v2, s[10:11]
	s_waitcnt vmcnt(0)
	v_mul_f32_e32 v5, v0, v2
	s_delay_alu instid0(VALU_DEP_1) | instskip(NEXT) | instid1(VALU_DEP_1)
	v_and_b32_e32 v2, 0x7f800000, v5
	v_cmp_ne_u32_e32 vcc_lo, 0x7f800000, v2
                                        ; implicit-def: $vgpr2
	s_and_saveexec_b32 s1, vcc_lo
	s_delay_alu instid0(SALU_CYCLE_1)
	s_xor_b32 s1, exec_lo, s1
; %bb.38:                               ;   in Loop: Header=BB161_3 Depth=1
	v_bfe_u32 v2, v5, 16, 1
	s_delay_alu instid0(VALU_DEP_1)
	v_add3_u32 v2, v5, v2, 0x7fff
                                        ; implicit-def: $vgpr5
; %bb.39:                               ;   in Loop: Header=BB161_3 Depth=1
	s_and_not1_saveexec_b32 s1, s1
; %bb.40:                               ;   in Loop: Header=BB161_3 Depth=1
	v_and_b32_e32 v2, 0xffff, v5
	v_or_b32_e32 v67, 0x10000, v5
	s_delay_alu instid0(VALU_DEP_2) | instskip(NEXT) | instid1(VALU_DEP_2)
	v_cmp_eq_u32_e32 vcc_lo, 0, v2
	v_cndmask_b32_e32 v2, v67, v5, vcc_lo
; %bb.41:                               ;   in Loop: Header=BB161_3 Depth=1
	s_or_b32 exec_lo, exec_lo, s1
	v_and_b32_e32 v4, 15, v4
	s_getpc_b64 s[10:11]
	s_add_u32 s10, s10, _ZL22nf4_dequantization_lut@rel32@lo+4
	s_addc_u32 s11, s11, _ZL22nf4_dequantization_lut@rel32@hi+12
	s_delay_alu instid0(VALU_DEP_1) | instskip(SKIP_3) | instid1(VALU_DEP_1)
	v_lshlrev_b32_e32 v4, 2, v4
	global_load_b32 v4, v4, s[10:11]
	s_waitcnt vmcnt(0)
	v_mul_f32_e32 v5, v0, v4
	v_and_b32_e32 v4, 0x7f800000, v5
	s_delay_alu instid0(VALU_DEP_1) | instskip(SKIP_1) | instid1(SALU_CYCLE_1)
	v_cmp_ne_u32_e32 vcc_lo, 0x7f800000, v4
                                        ; implicit-def: $vgpr4
	s_and_saveexec_b32 s1, vcc_lo
	s_xor_b32 s1, exec_lo, s1
; %bb.42:                               ;   in Loop: Header=BB161_3 Depth=1
	v_bfe_u32 v4, v5, 16, 1
	s_delay_alu instid0(VALU_DEP_1)
	v_add3_u32 v4, v5, v4, 0x7fff
                                        ; implicit-def: $vgpr5
; %bb.43:                               ;   in Loop: Header=BB161_3 Depth=1
	s_and_not1_saveexec_b32 s1, s1
; %bb.44:                               ;   in Loop: Header=BB161_3 Depth=1
	v_and_b32_e32 v4, 0xffff, v5
	v_or_b32_e32 v67, 0x10000, v5
	s_delay_alu instid0(VALU_DEP_2) | instskip(NEXT) | instid1(VALU_DEP_2)
	v_cmp_eq_u32_e32 vcc_lo, 0, v4
	v_cndmask_b32_e32 v4, v67, v5, vcc_lo
; %bb.45:                               ;   in Loop: Header=BB161_3 Depth=1
	s_or_b32 exec_lo, exec_lo, s1
	v_lshrrev_b16 v5, 4, v3
	s_getpc_b64 s[10:11]
	s_add_u32 s10, s10, _ZL22nf4_dequantization_lut@rel32@lo+4
	s_addc_u32 s11, s11, _ZL22nf4_dequantization_lut@rel32@hi+12
	s_delay_alu instid0(VALU_DEP_1) | instskip(NEXT) | instid1(VALU_DEP_1)
	v_and_b32_e32 v5, 15, v5
	v_and_b32_e32 v5, 0xffff, v5
	s_delay_alu instid0(VALU_DEP_1) | instskip(SKIP_3) | instid1(VALU_DEP_1)
	v_lshlrev_b32_e32 v5, 2, v5
	global_load_b32 v5, v5, s[10:11]
	s_waitcnt vmcnt(0)
	v_mul_f32_e32 v67, v0, v5
	v_and_b32_e32 v5, 0x7f800000, v67
	s_delay_alu instid0(VALU_DEP_1) | instskip(SKIP_1) | instid1(SALU_CYCLE_1)
	v_cmp_ne_u32_e32 vcc_lo, 0x7f800000, v5
                                        ; implicit-def: $vgpr5
	s_and_saveexec_b32 s1, vcc_lo
	s_xor_b32 s1, exec_lo, s1
; %bb.46:                               ;   in Loop: Header=BB161_3 Depth=1
	v_bfe_u32 v5, v67, 16, 1
	s_delay_alu instid0(VALU_DEP_1)
	v_add3_u32 v5, v67, v5, 0x7fff
                                        ; implicit-def: $vgpr67
; %bb.47:                               ;   in Loop: Header=BB161_3 Depth=1
	s_and_not1_saveexec_b32 s1, s1
; %bb.48:                               ;   in Loop: Header=BB161_3 Depth=1
	v_and_b32_e32 v5, 0xffff, v67
	v_or_b32_e32 v68, 0x10000, v67
	s_delay_alu instid0(VALU_DEP_2) | instskip(NEXT) | instid1(VALU_DEP_2)
	v_cmp_eq_u32_e32 vcc_lo, 0, v5
	v_cndmask_b32_e32 v5, v68, v67, vcc_lo
; %bb.49:                               ;   in Loop: Header=BB161_3 Depth=1
	s_or_b32 exec_lo, exec_lo, s1
	v_and_b32_e32 v67, 15, v3
	s_getpc_b64 s[10:11]
	s_add_u32 s10, s10, _ZL22nf4_dequantization_lut@rel32@lo+4
	s_addc_u32 s11, s11, _ZL22nf4_dequantization_lut@rel32@hi+12
	s_delay_alu instid0(VALU_DEP_1) | instskip(SKIP_3) | instid1(VALU_DEP_1)
	v_lshlrev_b32_e32 v67, 2, v67
	global_load_b32 v67, v67, s[10:11]
	s_waitcnt vmcnt(0)
	v_mul_f32_e32 v68, v0, v67
	v_and_b32_e32 v67, 0x7f800000, v68
	s_delay_alu instid0(VALU_DEP_1) | instskip(SKIP_1) | instid1(SALU_CYCLE_1)
	v_cmp_ne_u32_e32 vcc_lo, 0x7f800000, v67
                                        ; implicit-def: $vgpr67
	s_and_saveexec_b32 s1, vcc_lo
	s_xor_b32 s1, exec_lo, s1
; %bb.50:                               ;   in Loop: Header=BB161_3 Depth=1
	v_bfe_u32 v67, v68, 16, 1
	s_delay_alu instid0(VALU_DEP_1)
	v_add3_u32 v67, v68, v67, 0x7fff
                                        ; implicit-def: $vgpr68
; %bb.51:                               ;   in Loop: Header=BB161_3 Depth=1
	s_and_not1_saveexec_b32 s1, s1
; %bb.52:                               ;   in Loop: Header=BB161_3 Depth=1
	v_and_b32_e32 v67, 0xffff, v68
	v_or_b32_e32 v69, 0x10000, v68
	s_delay_alu instid0(VALU_DEP_2) | instskip(NEXT) | instid1(VALU_DEP_2)
	v_cmp_eq_u32_e32 vcc_lo, 0, v67
	v_cndmask_b32_e32 v67, v69, v68, vcc_lo
; %bb.53:                               ;   in Loop: Header=BB161_3 Depth=1
	s_or_b32 exec_lo, exec_lo, s1
	v_lshrrev_b32_e32 v69, 8, v3
	s_getpc_b64 s[10:11]
	s_add_u32 s10, s10, _ZL22nf4_dequantization_lut@rel32@lo+4
	s_addc_u32 s11, s11, _ZL22nf4_dequantization_lut@rel32@hi+12
	s_delay_alu instid0(VALU_DEP_1) | instskip(NEXT) | instid1(VALU_DEP_1)
	v_lshrrev_b16 v68, 4, v69
	v_and_b32_e32 v68, 15, v68
	s_delay_alu instid0(VALU_DEP_1) | instskip(NEXT) | instid1(VALU_DEP_1)
	v_and_b32_e32 v68, 0xffff, v68
	v_lshlrev_b32_e32 v68, 2, v68
	global_load_b32 v68, v68, s[10:11]
	s_waitcnt vmcnt(0)
	v_mul_f32_e32 v70, v0, v68
	s_delay_alu instid0(VALU_DEP_1) | instskip(NEXT) | instid1(VALU_DEP_1)
	v_and_b32_e32 v68, 0x7f800000, v70
	v_cmp_ne_u32_e32 vcc_lo, 0x7f800000, v68
                                        ; implicit-def: $vgpr68
	s_and_saveexec_b32 s1, vcc_lo
	s_delay_alu instid0(SALU_CYCLE_1)
	s_xor_b32 s1, exec_lo, s1
; %bb.54:                               ;   in Loop: Header=BB161_3 Depth=1
	v_bfe_u32 v68, v70, 16, 1
	s_delay_alu instid0(VALU_DEP_1)
	v_add3_u32 v68, v70, v68, 0x7fff
                                        ; implicit-def: $vgpr70
; %bb.55:                               ;   in Loop: Header=BB161_3 Depth=1
	s_and_not1_saveexec_b32 s1, s1
; %bb.56:                               ;   in Loop: Header=BB161_3 Depth=1
	v_and_b32_e32 v68, 0xffff, v70
	v_or_b32_e32 v71, 0x10000, v70
	s_delay_alu instid0(VALU_DEP_2) | instskip(NEXT) | instid1(VALU_DEP_2)
	v_cmp_eq_u32_e32 vcc_lo, 0, v68
	v_cndmask_b32_e32 v68, v71, v70, vcc_lo
; %bb.57:                               ;   in Loop: Header=BB161_3 Depth=1
	s_or_b32 exec_lo, exec_lo, s1
	v_and_b32_e32 v69, 15, v69
	s_getpc_b64 s[10:11]
	s_add_u32 s10, s10, _ZL22nf4_dequantization_lut@rel32@lo+4
	s_addc_u32 s11, s11, _ZL22nf4_dequantization_lut@rel32@hi+12
	s_delay_alu instid0(VALU_DEP_1) | instskip(SKIP_3) | instid1(VALU_DEP_1)
	v_lshlrev_b32_e32 v69, 2, v69
	global_load_b32 v69, v69, s[10:11]
	s_waitcnt vmcnt(0)
	v_mul_f32_e32 v70, v0, v69
	v_and_b32_e32 v69, 0x7f800000, v70
	s_delay_alu instid0(VALU_DEP_1) | instskip(SKIP_1) | instid1(SALU_CYCLE_1)
	v_cmp_ne_u32_e32 vcc_lo, 0x7f800000, v69
                                        ; implicit-def: $vgpr69
	s_and_saveexec_b32 s1, vcc_lo
	s_xor_b32 s1, exec_lo, s1
; %bb.58:                               ;   in Loop: Header=BB161_3 Depth=1
	v_bfe_u32 v69, v70, 16, 1
	s_delay_alu instid0(VALU_DEP_1)
	v_add3_u32 v69, v70, v69, 0x7fff
                                        ; implicit-def: $vgpr70
; %bb.59:                               ;   in Loop: Header=BB161_3 Depth=1
	s_and_not1_saveexec_b32 s1, s1
; %bb.60:                               ;   in Loop: Header=BB161_3 Depth=1
	v_and_b32_e32 v69, 0xffff, v70
	v_or_b32_e32 v71, 0x10000, v70
	s_delay_alu instid0(VALU_DEP_2) | instskip(NEXT) | instid1(VALU_DEP_2)
	v_cmp_eq_u32_e32 vcc_lo, 0, v69
	v_cndmask_b32_e32 v69, v71, v70, vcc_lo
; %bb.61:                               ;   in Loop: Header=BB161_3 Depth=1
	s_or_b32 exec_lo, exec_lo, s1
	v_lshrrev_b32_e32 v70, 18, v3
	s_getpc_b64 s[10:11]
	s_add_u32 s10, s10, _ZL22nf4_dequantization_lut@rel32@lo+4
	s_addc_u32 s11, s11, _ZL22nf4_dequantization_lut@rel32@hi+12
	s_delay_alu instid0(VALU_DEP_1) | instskip(SKIP_3) | instid1(VALU_DEP_1)
	v_and_b32_e32 v70, 60, v70
	global_load_b32 v70, v70, s[10:11]
	s_waitcnt vmcnt(0)
	v_mul_f32_e32 v71, v0, v70
	v_and_b32_e32 v70, 0x7f800000, v71
	s_delay_alu instid0(VALU_DEP_1) | instskip(SKIP_1) | instid1(SALU_CYCLE_1)
	v_cmp_ne_u32_e32 vcc_lo, 0x7f800000, v70
                                        ; implicit-def: $vgpr70
	s_and_saveexec_b32 s1, vcc_lo
	s_xor_b32 s1, exec_lo, s1
; %bb.62:                               ;   in Loop: Header=BB161_3 Depth=1
	v_bfe_u32 v70, v71, 16, 1
	s_delay_alu instid0(VALU_DEP_1)
	v_add3_u32 v70, v71, v70, 0x7fff
                                        ; implicit-def: $vgpr71
; %bb.63:                               ;   in Loop: Header=BB161_3 Depth=1
	s_and_not1_saveexec_b32 s1, s1
; %bb.64:                               ;   in Loop: Header=BB161_3 Depth=1
	v_and_b32_e32 v70, 0xffff, v71
	v_or_b32_e32 v72, 0x10000, v71
	s_delay_alu instid0(VALU_DEP_2) | instskip(NEXT) | instid1(VALU_DEP_2)
	v_cmp_eq_u32_e32 vcc_lo, 0, v70
	v_cndmask_b32_e32 v70, v72, v71, vcc_lo
; %bb.65:                               ;   in Loop: Header=BB161_3 Depth=1
	s_or_b32 exec_lo, exec_lo, s1
	v_lshrrev_b32_e32 v71, 16, v3
	s_getpc_b64 s[10:11]
	s_add_u32 s10, s10, _ZL22nf4_dequantization_lut@rel32@lo+4
	s_addc_u32 s11, s11, _ZL22nf4_dequantization_lut@rel32@hi+12
	s_delay_alu instid0(VALU_DEP_1) | instskip(NEXT) | instid1(VALU_DEP_1)
	v_and_b32_e32 v71, 15, v71
	v_lshlrev_b32_e32 v71, 2, v71
	global_load_b32 v71, v71, s[10:11]
	s_waitcnt vmcnt(0)
	v_mul_f32_e32 v72, v0, v71
	s_delay_alu instid0(VALU_DEP_1) | instskip(NEXT) | instid1(VALU_DEP_1)
	v_and_b32_e32 v71, 0x7f800000, v72
	v_cmp_ne_u32_e32 vcc_lo, 0x7f800000, v71
                                        ; implicit-def: $vgpr71
	s_and_saveexec_b32 s1, vcc_lo
	s_delay_alu instid0(SALU_CYCLE_1)
	s_xor_b32 s1, exec_lo, s1
; %bb.66:                               ;   in Loop: Header=BB161_3 Depth=1
	v_bfe_u32 v71, v72, 16, 1
	s_delay_alu instid0(VALU_DEP_1)
	v_add3_u32 v71, v72, v71, 0x7fff
                                        ; implicit-def: $vgpr72
; %bb.67:                               ;   in Loop: Header=BB161_3 Depth=1
	s_and_not1_saveexec_b32 s1, s1
; %bb.68:                               ;   in Loop: Header=BB161_3 Depth=1
	v_and_b32_e32 v71, 0xffff, v72
	v_or_b32_e32 v73, 0x10000, v72
	s_delay_alu instid0(VALU_DEP_2) | instskip(NEXT) | instid1(VALU_DEP_2)
	v_cmp_eq_u32_e32 vcc_lo, 0, v71
	v_cndmask_b32_e32 v71, v73, v72, vcc_lo
; %bb.69:                               ;   in Loop: Header=BB161_3 Depth=1
	s_or_b32 exec_lo, exec_lo, s1
	v_lshrrev_b32_e32 v72, 24, v3
	s_getpc_b64 s[10:11]
	s_add_u32 s10, s10, _ZL22nf4_dequantization_lut@rel32@lo+4
	s_addc_u32 s11, s11, _ZL22nf4_dequantization_lut@rel32@hi+12
	s_delay_alu instid0(VALU_DEP_1) | instskip(NEXT) | instid1(VALU_DEP_1)
	v_lshrrev_b16 v3, 4, v72
	v_and_b32_e32 v3, 0xffff, v3
	s_delay_alu instid0(VALU_DEP_1) | instskip(SKIP_3) | instid1(VALU_DEP_1)
	v_lshlrev_b32_e32 v3, 2, v3
	global_load_b32 v3, v3, s[10:11]
	s_waitcnt vmcnt(0)
	v_mul_f32_e32 v73, v0, v3
	v_and_b32_e32 v3, 0x7f800000, v73
	s_delay_alu instid0(VALU_DEP_1) | instskip(SKIP_1) | instid1(SALU_CYCLE_1)
	v_cmp_ne_u32_e32 vcc_lo, 0x7f800000, v3
                                        ; implicit-def: $vgpr3
	s_and_saveexec_b32 s1, vcc_lo
	s_xor_b32 s1, exec_lo, s1
; %bb.70:                               ;   in Loop: Header=BB161_3 Depth=1
	v_bfe_u32 v3, v73, 16, 1
	s_delay_alu instid0(VALU_DEP_1)
	v_add3_u32 v3, v73, v3, 0x7fff
                                        ; implicit-def: $vgpr73
; %bb.71:                               ;   in Loop: Header=BB161_3 Depth=1
	s_and_not1_saveexec_b32 s1, s1
; %bb.72:                               ;   in Loop: Header=BB161_3 Depth=1
	v_and_b32_e32 v3, 0xffff, v73
	v_or_b32_e32 v74, 0x10000, v73
	s_delay_alu instid0(VALU_DEP_2) | instskip(NEXT) | instid1(VALU_DEP_2)
	v_cmp_eq_u32_e32 vcc_lo, 0, v3
	v_cndmask_b32_e32 v3, v74, v73, vcc_lo
; %bb.73:                               ;   in Loop: Header=BB161_3 Depth=1
	s_or_b32 exec_lo, exec_lo, s1
	v_and_b32_e32 v72, 15, v72
	s_getpc_b64 s[10:11]
	s_add_u32 s10, s10, _ZL22nf4_dequantization_lut@rel32@lo+4
	s_addc_u32 s11, s11, _ZL22nf4_dequantization_lut@rel32@hi+12
	s_delay_alu instid0(VALU_DEP_1) | instskip(SKIP_3) | instid1(VALU_DEP_1)
	v_lshlrev_b32_e32 v72, 2, v72
	global_load_b32 v72, v72, s[10:11]
	s_waitcnt vmcnt(0)
	v_mul_f32_e32 v72, v0, v72
	v_and_b32_e32 v0, 0x7f800000, v72
	s_delay_alu instid0(VALU_DEP_1) | instskip(SKIP_1) | instid1(SALU_CYCLE_1)
	v_cmp_ne_u32_e32 vcc_lo, 0x7f800000, v0
                                        ; implicit-def: $vgpr0
	s_and_saveexec_b32 s1, vcc_lo
	s_xor_b32 s1, exec_lo, s1
; %bb.74:                               ;   in Loop: Header=BB161_3 Depth=1
	v_bfe_u32 v0, v72, 16, 1
	s_delay_alu instid0(VALU_DEP_1)
	v_add3_u32 v0, v72, v0, 0x7fff
                                        ; implicit-def: $vgpr72
; %bb.75:                               ;   in Loop: Header=BB161_3 Depth=1
	s_and_not1_saveexec_b32 s1, s1
; %bb.76:                               ;   in Loop: Header=BB161_3 Depth=1
	v_and_b32_e32 v0, 0xffff, v72
	v_or_b32_e32 v73, 0x10000, v72
	s_delay_alu instid0(VALU_DEP_2) | instskip(NEXT) | instid1(VALU_DEP_2)
	v_cmp_eq_u32_e32 vcc_lo, 0, v0
	v_cndmask_b32_e32 v0, v73, v72, vcc_lo
; %bb.77:                               ;   in Loop: Header=BB161_3 Depth=1
	s_or_b32 exec_lo, exec_lo, s1
	v_perm_b32 v75, v4, v2, 0x7060302
	v_perm_b32 v74, v66, v65, 0x7060302
	;; [unrolled: 1-line block ×8, first 2 shown]
	s_barrier
	buffer_gl0_inv
	ds_store_b128 v29, v[72:75]
	ds_store_b128 v29, v[61:64] offset:16
	; wave barrier
	ds_load_u16 v72, v34
	ds_load_u16 v71, v35
	;; [unrolled: 1-line block ×15, first 2 shown]
	s_ashr_i32 s1, s0, 31
	s_min_i32 s10, s5, 0x400
	s_lshl_b64 s[12:13], s[0:1], 1
	s_mov_b32 s1, exec_lo
	v_add_co_u32 v2, vcc_lo, v59, s12
	v_add_co_ci_u32_e32 v3, vcc_lo, s13, v60, vcc_lo
	v_cmpx_gt_u32_e64 s10, v25
	s_xor_b32 s1, exec_lo, s1
	s_cbranch_execnz .LBB161_99
; %bb.78:                               ;   in Loop: Header=BB161_3 Depth=1
	s_or_b32 exec_lo, exec_lo, s1
	s_delay_alu instid0(SALU_CYCLE_1)
	s_mov_b32 s1, exec_lo
	v_cmpx_gt_u32_e64 s10, v31
	s_cbranch_execnz .LBB161_100
.LBB161_79:                             ;   in Loop: Header=BB161_3 Depth=1
	s_or_b32 exec_lo, exec_lo, s1
	s_delay_alu instid0(SALU_CYCLE_1)
	s_mov_b32 s1, exec_lo
	v_cmpx_gt_u32_e64 s10, v27
	s_cbranch_execnz .LBB161_101
.LBB161_80:                             ;   in Loop: Header=BB161_3 Depth=1
	s_or_b32 exec_lo, exec_lo, s1
	s_delay_alu instid0(SALU_CYCLE_1)
	s_mov_b32 s1, exec_lo
	v_cmpx_gt_u32_e64 s10, v28
	s_cbranch_execnz .LBB161_102
.LBB161_81:                             ;   in Loop: Header=BB161_3 Depth=1
	s_or_b32 exec_lo, exec_lo, s1
	s_delay_alu instid0(SALU_CYCLE_1)
	s_mov_b32 s1, exec_lo
	v_cmpx_gt_u32_e64 s10, v33
	s_cbranch_execnz .LBB161_103
.LBB161_82:                             ;   in Loop: Header=BB161_3 Depth=1
	s_or_b32 exec_lo, exec_lo, s1
	s_delay_alu instid0(SALU_CYCLE_1)
	s_mov_b32 s1, exec_lo
	v_cmpx_gt_u32_e64 s10, v32
	s_cbranch_execnz .LBB161_104
.LBB161_83:                             ;   in Loop: Header=BB161_3 Depth=1
	s_or_b32 exec_lo, exec_lo, s1
	s_delay_alu instid0(SALU_CYCLE_1)
	s_mov_b32 s1, exec_lo
	v_cmpx_gt_u32_e64 s10, v37
	s_cbranch_execnz .LBB161_105
.LBB161_84:                             ;   in Loop: Header=BB161_3 Depth=1
	s_or_b32 exec_lo, exec_lo, s1
	s_delay_alu instid0(SALU_CYCLE_1)
	s_mov_b32 s1, exec_lo
	v_cmpx_gt_u32_e64 s10, v36
	s_cbranch_execnz .LBB161_106
.LBB161_85:                             ;   in Loop: Header=BB161_3 Depth=1
	s_or_b32 exec_lo, exec_lo, s1
	s_delay_alu instid0(SALU_CYCLE_1)
	s_mov_b32 s1, exec_lo
	v_cmpx_gt_u32_e64 s10, v42
	s_cbranch_execnz .LBB161_107
.LBB161_86:                             ;   in Loop: Header=BB161_3 Depth=1
	s_or_b32 exec_lo, exec_lo, s1
	s_delay_alu instid0(SALU_CYCLE_1)
	s_mov_b32 s1, exec_lo
	v_cmpx_gt_u32_e64 s10, v40
	s_cbranch_execnz .LBB161_108
.LBB161_87:                             ;   in Loop: Header=BB161_3 Depth=1
	s_or_b32 exec_lo, exec_lo, s1
	s_delay_alu instid0(SALU_CYCLE_1)
	s_mov_b32 s1, exec_lo
	v_cmpx_gt_u32_e64 s10, v44
	s_cbranch_execnz .LBB161_109
.LBB161_88:                             ;   in Loop: Header=BB161_3 Depth=1
	s_or_b32 exec_lo, exec_lo, s1
	s_delay_alu instid0(SALU_CYCLE_1)
	s_mov_b32 s1, exec_lo
	v_cmpx_gt_u32_e64 s10, v46
	s_cbranch_execnz .LBB161_110
.LBB161_89:                             ;   in Loop: Header=BB161_3 Depth=1
	s_or_b32 exec_lo, exec_lo, s1
	s_delay_alu instid0(SALU_CYCLE_1)
	s_mov_b32 s1, exec_lo
	v_cmpx_gt_u32_e64 s10, v51
	s_cbranch_execnz .LBB161_111
.LBB161_90:                             ;   in Loop: Header=BB161_3 Depth=1
	s_or_b32 exec_lo, exec_lo, s1
	s_delay_alu instid0(SALU_CYCLE_1)
	s_mov_b32 s1, exec_lo
	v_cmpx_gt_u32_e64 s10, v48
	s_cbranch_execnz .LBB161_112
.LBB161_91:                             ;   in Loop: Header=BB161_3 Depth=1
	s_or_b32 exec_lo, exec_lo, s1
	s_delay_alu instid0(SALU_CYCLE_1)
	s_mov_b32 s1, exec_lo
	v_cmpx_gt_u32_e64 s10, v52
	s_cbranch_execnz .LBB161_113
.LBB161_92:                             ;   in Loop: Header=BB161_3 Depth=1
	s_or_b32 exec_lo, exec_lo, s1
	s_delay_alu instid0(SALU_CYCLE_1)
	s_mov_b32 s1, exec_lo
	v_cmpx_gt_u32_e64 s10, v53
	s_cbranch_execz .LBB161_2
	s_branch .LBB161_114
.LBB161_93:                             ;   in Loop: Header=BB161_3 Depth=1
	global_load_u8 v66, v[2:3], off offset:32
	s_or_b32 exec_lo, exec_lo, s10
	s_delay_alu instid0(SALU_CYCLE_1)
	s_mov_b32 s10, exec_lo
	v_cmpx_gt_u32_e64 s1, v9
	s_cbranch_execz .LBB161_7
.LBB161_94:                             ;   in Loop: Header=BB161_3 Depth=1
	global_load_u8 v4, v[2:3], off offset:64
	s_or_b32 exec_lo, exec_lo, s10
	s_delay_alu instid0(SALU_CYCLE_1)
	s_mov_b32 s10, exec_lo
	v_cmpx_gt_u32_e64 s1, v10
	s_cbranch_execz .LBB161_8
.LBB161_95:                             ;   in Loop: Header=BB161_3 Depth=1
	global_load_u8 v61, v[2:3], off offset:96
	s_or_b32 exec_lo, exec_lo, s10
	s_delay_alu instid0(SALU_CYCLE_1)
	s_mov_b32 s10, exec_lo
	v_cmpx_gt_u32_e64 s1, v11
	s_cbranch_execz .LBB161_9
.LBB161_96:                             ;   in Loop: Header=BB161_3 Depth=1
	global_load_u8 v62, v[2:3], off offset:128
	s_or_b32 exec_lo, exec_lo, s10
	s_delay_alu instid0(SALU_CYCLE_1)
	s_mov_b32 s10, exec_lo
	v_cmpx_gt_u32_e64 s1, v12
	s_cbranch_execz .LBB161_10
.LBB161_97:                             ;   in Loop: Header=BB161_3 Depth=1
	global_load_u8 v63, v[2:3], off offset:160
	s_or_b32 exec_lo, exec_lo, s10
	s_delay_alu instid0(SALU_CYCLE_1)
	s_mov_b32 s10, exec_lo
	v_cmpx_gt_u32_e64 s1, v13
	s_cbranch_execz .LBB161_11
.LBB161_98:                             ;   in Loop: Header=BB161_3 Depth=1
	global_load_u8 v64, v[2:3], off offset:192
	s_or_b32 exec_lo, exec_lo, s10
	v_cmp_gt_u32_e32 vcc_lo, s1, v16
	s_and_saveexec_b32 s1, vcc_lo
	s_cbranch_execnz .LBB161_12
	s_branch .LBB161_13
.LBB161_99:                             ;   in Loop: Header=BB161_3 Depth=1
	ds_load_u16 v73, v30
	s_waitcnt lgkmcnt(0)
	global_store_b16 v[2:3], v73, off
	s_or_b32 exec_lo, exec_lo, s1
	s_delay_alu instid0(SALU_CYCLE_1)
	s_mov_b32 s1, exec_lo
	v_cmpx_gt_u32_e64 s10, v31
	s_cbranch_execz .LBB161_79
.LBB161_100:                            ;   in Loop: Header=BB161_3 Depth=1
	s_waitcnt lgkmcnt(14)
	global_store_b16 v[2:3], v72, off offset:64
	s_or_b32 exec_lo, exec_lo, s1
	s_delay_alu instid0(SALU_CYCLE_1)
	s_mov_b32 s1, exec_lo
	v_cmpx_gt_u32_e64 s10, v27
	s_cbranch_execz .LBB161_80
.LBB161_101:                            ;   in Loop: Header=BB161_3 Depth=1
	s_waitcnt lgkmcnt(13)
	global_store_b16 v[2:3], v71, off offset:128
	s_or_b32 exec_lo, exec_lo, s1
	s_delay_alu instid0(SALU_CYCLE_1)
	s_mov_b32 s1, exec_lo
	v_cmpx_gt_u32_e64 s10, v28
	s_cbranch_execz .LBB161_81
.LBB161_102:                            ;   in Loop: Header=BB161_3 Depth=1
	s_waitcnt lgkmcnt(12)
	global_store_b16 v[2:3], v70, off offset:192
	s_or_b32 exec_lo, exec_lo, s1
	s_delay_alu instid0(SALU_CYCLE_1)
	s_mov_b32 s1, exec_lo
	v_cmpx_gt_u32_e64 s10, v33
	s_cbranch_execz .LBB161_82
.LBB161_103:                            ;   in Loop: Header=BB161_3 Depth=1
	s_waitcnt lgkmcnt(11)
	global_store_b16 v[2:3], v69, off offset:256
	s_or_b32 exec_lo, exec_lo, s1
	s_delay_alu instid0(SALU_CYCLE_1)
	s_mov_b32 s1, exec_lo
	v_cmpx_gt_u32_e64 s10, v32
	s_cbranch_execz .LBB161_83
.LBB161_104:                            ;   in Loop: Header=BB161_3 Depth=1
	s_waitcnt lgkmcnt(10)
	global_store_b16 v[2:3], v68, off offset:320
	s_or_b32 exec_lo, exec_lo, s1
	s_delay_alu instid0(SALU_CYCLE_1)
	s_mov_b32 s1, exec_lo
	v_cmpx_gt_u32_e64 s10, v37
	s_cbranch_execz .LBB161_84
.LBB161_105:                            ;   in Loop: Header=BB161_3 Depth=1
	s_waitcnt lgkmcnt(9)
	global_store_b16 v[2:3], v67, off offset:384
	s_or_b32 exec_lo, exec_lo, s1
	s_delay_alu instid0(SALU_CYCLE_1)
	s_mov_b32 s1, exec_lo
	v_cmpx_gt_u32_e64 s10, v36
	s_cbranch_execz .LBB161_85
.LBB161_106:                            ;   in Loop: Header=BB161_3 Depth=1
	s_waitcnt lgkmcnt(8)
	global_store_b16 v[2:3], v66, off offset:448
	s_or_b32 exec_lo, exec_lo, s1
	s_delay_alu instid0(SALU_CYCLE_1)
	s_mov_b32 s1, exec_lo
	v_cmpx_gt_u32_e64 s10, v42
	s_cbranch_execz .LBB161_86
.LBB161_107:                            ;   in Loop: Header=BB161_3 Depth=1
	s_waitcnt lgkmcnt(7)
	global_store_b16 v[2:3], v65, off offset:512
	s_or_b32 exec_lo, exec_lo, s1
	s_delay_alu instid0(SALU_CYCLE_1)
	s_mov_b32 s1, exec_lo
	v_cmpx_gt_u32_e64 s10, v40
	s_cbranch_execz .LBB161_87
.LBB161_108:                            ;   in Loop: Header=BB161_3 Depth=1
	s_waitcnt lgkmcnt(6)
	global_store_b16 v[2:3], v64, off offset:576
	s_or_b32 exec_lo, exec_lo, s1
	s_delay_alu instid0(SALU_CYCLE_1)
	s_mov_b32 s1, exec_lo
	v_cmpx_gt_u32_e64 s10, v44
	s_cbranch_execz .LBB161_88
.LBB161_109:                            ;   in Loop: Header=BB161_3 Depth=1
	s_waitcnt lgkmcnt(5)
	global_store_b16 v[2:3], v63, off offset:640
	s_or_b32 exec_lo, exec_lo, s1
	s_delay_alu instid0(SALU_CYCLE_1)
	s_mov_b32 s1, exec_lo
	v_cmpx_gt_u32_e64 s10, v46
	s_cbranch_execz .LBB161_89
.LBB161_110:                            ;   in Loop: Header=BB161_3 Depth=1
	s_waitcnt lgkmcnt(4)
	global_store_b16 v[2:3], v62, off offset:704
	s_or_b32 exec_lo, exec_lo, s1
	s_delay_alu instid0(SALU_CYCLE_1)
	s_mov_b32 s1, exec_lo
	v_cmpx_gt_u32_e64 s10, v51
	s_cbranch_execz .LBB161_90
.LBB161_111:                            ;   in Loop: Header=BB161_3 Depth=1
	s_waitcnt lgkmcnt(3)
	global_store_b16 v[2:3], v61, off offset:768
	s_or_b32 exec_lo, exec_lo, s1
	s_delay_alu instid0(SALU_CYCLE_1)
	s_mov_b32 s1, exec_lo
	v_cmpx_gt_u32_e64 s10, v48
	s_cbranch_execz .LBB161_91
.LBB161_112:                            ;   in Loop: Header=BB161_3 Depth=1
	s_waitcnt lgkmcnt(2)
	global_store_b16 v[2:3], v5, off offset:832
	s_or_b32 exec_lo, exec_lo, s1
	s_delay_alu instid0(SALU_CYCLE_1)
	s_mov_b32 s1, exec_lo
	v_cmpx_gt_u32_e64 s10, v52
	s_cbranch_execz .LBB161_92
.LBB161_113:                            ;   in Loop: Header=BB161_3 Depth=1
	s_waitcnt lgkmcnt(1)
	global_store_b16 v[2:3], v4, off offset:896
	s_or_b32 exec_lo, exec_lo, s1
	s_delay_alu instid0(SALU_CYCLE_1)
	s_mov_b32 s1, exec_lo
	v_cmpx_gt_u32_e64 s10, v53
	s_cbranch_execz .LBB161_2
.LBB161_114:                            ;   in Loop: Header=BB161_3 Depth=1
	s_waitcnt lgkmcnt(0)
	global_store_b16 v[2:3], v0, off offset:960
	s_branch .LBB161_2
.LBB161_115:
	s_nop 0
	s_sendmsg sendmsg(MSG_DEALLOC_VGPRS)
	s_endpgm
	.section	.rodata,"a",@progbits
	.p2align	6, 0x0
	.amdhsa_kernel _Z20kDequantizeBlockwiseI12hip_bfloat16Li512ELi64ELi8ELi2EEvPfPhS1_PT_ii
		.amdhsa_group_segment_fixed_size 2640
		.amdhsa_private_segment_fixed_size 0
		.amdhsa_kernarg_size 296
		.amdhsa_user_sgpr_count 15
		.amdhsa_user_sgpr_dispatch_ptr 0
		.amdhsa_user_sgpr_queue_ptr 0
		.amdhsa_user_sgpr_kernarg_segment_ptr 1
		.amdhsa_user_sgpr_dispatch_id 0
		.amdhsa_user_sgpr_private_segment_size 0
		.amdhsa_wavefront_size32 1
		.amdhsa_uses_dynamic_stack 0
		.amdhsa_enable_private_segment 0
		.amdhsa_system_sgpr_workgroup_id_x 1
		.amdhsa_system_sgpr_workgroup_id_y 0
		.amdhsa_system_sgpr_workgroup_id_z 0
		.amdhsa_system_sgpr_workgroup_info 0
		.amdhsa_system_vgpr_workitem_id 0
		.amdhsa_next_free_vgpr 76
		.amdhsa_next_free_sgpr 16
		.amdhsa_reserve_vcc 1
		.amdhsa_float_round_mode_32 0
		.amdhsa_float_round_mode_16_64 0
		.amdhsa_float_denorm_mode_32 3
		.amdhsa_float_denorm_mode_16_64 3
		.amdhsa_dx10_clamp 1
		.amdhsa_ieee_mode 1
		.amdhsa_fp16_overflow 0
		.amdhsa_workgroup_processor_mode 1
		.amdhsa_memory_ordered 1
		.amdhsa_forward_progress 0
		.amdhsa_shared_vgpr_count 0
		.amdhsa_exception_fp_ieee_invalid_op 0
		.amdhsa_exception_fp_denorm_src 0
		.amdhsa_exception_fp_ieee_div_zero 0
		.amdhsa_exception_fp_ieee_overflow 0
		.amdhsa_exception_fp_ieee_underflow 0
		.amdhsa_exception_fp_ieee_inexact 0
		.amdhsa_exception_int_div_zero 0
	.end_amdhsa_kernel
	.section	.text._Z20kDequantizeBlockwiseI12hip_bfloat16Li512ELi64ELi8ELi2EEvPfPhS1_PT_ii,"axG",@progbits,_Z20kDequantizeBlockwiseI12hip_bfloat16Li512ELi64ELi8ELi2EEvPfPhS1_PT_ii,comdat
.Lfunc_end161:
	.size	_Z20kDequantizeBlockwiseI12hip_bfloat16Li512ELi64ELi8ELi2EEvPfPhS1_PT_ii, .Lfunc_end161-_Z20kDequantizeBlockwiseI12hip_bfloat16Li512ELi64ELi8ELi2EEvPfPhS1_PT_ii
                                        ; -- End function
	.section	.AMDGPU.csdata,"",@progbits
; Kernel info:
; codeLenInByte = 4976
; NumSgprs: 18
; NumVgprs: 76
; ScratchSize: 0
; MemoryBound: 0
; FloatMode: 240
; IeeeMode: 1
; LDSByteSize: 2640 bytes/workgroup (compile time only)
; SGPRBlocks: 2
; VGPRBlocks: 9
; NumSGPRsForWavesPerEU: 18
; NumVGPRsForWavesPerEU: 76
; Occupancy: 16
; WaveLimiterHint : 0
; COMPUTE_PGM_RSRC2:SCRATCH_EN: 0
; COMPUTE_PGM_RSRC2:USER_SGPR: 15
; COMPUTE_PGM_RSRC2:TRAP_HANDLER: 0
; COMPUTE_PGM_RSRC2:TGID_X_EN: 1
; COMPUTE_PGM_RSRC2:TGID_Y_EN: 0
; COMPUTE_PGM_RSRC2:TGID_Z_EN: 0
; COMPUTE_PGM_RSRC2:TIDIG_COMP_CNT: 0
	.section	.text._Z35kOptimizerStatic8bit2StateBlockwiseIfLi0ELi256ELi1EEvPT_S1_PhS2_fffffifPfS3_S3_S3_ffbi,"axG",@progbits,_Z35kOptimizerStatic8bit2StateBlockwiseIfLi0ELi256ELi1EEvPT_S1_PhS2_fffffifPfS3_S3_S3_ffbi,comdat
